;; amdgpu-corpus repo=ROCm/rocFFT kind=compiled arch=gfx1030 opt=O3
	.text
	.amdgcn_target "amdgcn-amd-amdhsa--gfx1030"
	.amdhsa_code_object_version 6
	.protected	fft_rtc_back_len864_factors_3_6_16_3_wgs_54_tpt_54_halfLds_half_op_CI_CI_unitstride_sbrr_C2R_dirReg ; -- Begin function fft_rtc_back_len864_factors_3_6_16_3_wgs_54_tpt_54_halfLds_half_op_CI_CI_unitstride_sbrr_C2R_dirReg
	.globl	fft_rtc_back_len864_factors_3_6_16_3_wgs_54_tpt_54_halfLds_half_op_CI_CI_unitstride_sbrr_C2R_dirReg
	.p2align	8
	.type	fft_rtc_back_len864_factors_3_6_16_3_wgs_54_tpt_54_halfLds_half_op_CI_CI_unitstride_sbrr_C2R_dirReg,@function
fft_rtc_back_len864_factors_3_6_16_3_wgs_54_tpt_54_halfLds_half_op_CI_CI_unitstride_sbrr_C2R_dirReg: ; @fft_rtc_back_len864_factors_3_6_16_3_wgs_54_tpt_54_halfLds_half_op_CI_CI_unitstride_sbrr_C2R_dirReg
; %bb.0:
	s_clause 0x2
	s_load_dwordx4 s[12:15], s[4:5], 0x0
	s_load_dwordx4 s[8:11], s[4:5], 0x58
	;; [unrolled: 1-line block ×3, first 2 shown]
	v_mul_u32_u24_e32 v1, 0x4be, v0
	v_mov_b32_e32 v3, 0
	v_mov_b32_e32 v7, 0
	;; [unrolled: 1-line block ×3, first 2 shown]
	v_add_nc_u32_sdwa v9, s6, v1 dst_sel:DWORD dst_unused:UNUSED_PAD src0_sel:DWORD src1_sel:WORD_1
	v_mov_b32_e32 v10, v3
	s_waitcnt lgkmcnt(0)
	v_cmp_lt_u64_e64 s0, s[14:15], 2
	s_and_b32 vcc_lo, exec_lo, s0
	s_cbranch_vccnz .LBB0_8
; %bb.1:
	s_load_dwordx2 s[0:1], s[4:5], 0x10
	v_mov_b32_e32 v7, 0
	v_mov_b32_e32 v8, 0
	s_add_u32 s2, s18, 8
	s_addc_u32 s3, s19, 0
	v_mov_b32_e32 v1, v7
	s_add_u32 s6, s16, 8
	v_mov_b32_e32 v2, v8
	s_addc_u32 s7, s17, 0
	s_mov_b64 s[22:23], 1
	s_waitcnt lgkmcnt(0)
	s_add_u32 s20, s0, 8
	s_addc_u32 s21, s1, 0
.LBB0_2:                                ; =>This Inner Loop Header: Depth=1
	s_load_dwordx2 s[24:25], s[20:21], 0x0
                                        ; implicit-def: $vgpr5_vgpr6
	s_mov_b32 s0, exec_lo
	s_waitcnt lgkmcnt(0)
	v_or_b32_e32 v4, s25, v10
	v_cmpx_ne_u64_e32 0, v[3:4]
	s_xor_b32 s1, exec_lo, s0
	s_cbranch_execz .LBB0_4
; %bb.3:                                ;   in Loop: Header=BB0_2 Depth=1
	v_cvt_f32_u32_e32 v4, s24
	v_cvt_f32_u32_e32 v5, s25
	s_sub_u32 s0, 0, s24
	s_subb_u32 s26, 0, s25
	v_fmac_f32_e32 v4, 0x4f800000, v5
	v_rcp_f32_e32 v4, v4
	v_mul_f32_e32 v4, 0x5f7ffffc, v4
	v_mul_f32_e32 v5, 0x2f800000, v4
	v_trunc_f32_e32 v5, v5
	v_fmac_f32_e32 v4, 0xcf800000, v5
	v_cvt_u32_f32_e32 v5, v5
	v_cvt_u32_f32_e32 v4, v4
	v_mul_lo_u32 v6, s0, v5
	v_mul_hi_u32 v11, s0, v4
	v_mul_lo_u32 v12, s26, v4
	v_add_nc_u32_e32 v6, v11, v6
	v_mul_lo_u32 v11, s0, v4
	v_add_nc_u32_e32 v6, v6, v12
	v_mul_hi_u32 v12, v4, v11
	v_mul_lo_u32 v13, v4, v6
	v_mul_hi_u32 v14, v4, v6
	v_mul_hi_u32 v15, v5, v11
	v_mul_lo_u32 v11, v5, v11
	v_mul_hi_u32 v16, v5, v6
	v_mul_lo_u32 v6, v5, v6
	v_add_co_u32 v12, vcc_lo, v12, v13
	v_add_co_ci_u32_e32 v13, vcc_lo, 0, v14, vcc_lo
	v_add_co_u32 v11, vcc_lo, v12, v11
	v_add_co_ci_u32_e32 v11, vcc_lo, v13, v15, vcc_lo
	v_add_co_ci_u32_e32 v12, vcc_lo, 0, v16, vcc_lo
	v_add_co_u32 v6, vcc_lo, v11, v6
	v_add_co_ci_u32_e32 v11, vcc_lo, 0, v12, vcc_lo
	v_add_co_u32 v4, vcc_lo, v4, v6
	v_add_co_ci_u32_e32 v5, vcc_lo, v5, v11, vcc_lo
	v_mul_hi_u32 v6, s0, v4
	v_mul_lo_u32 v12, s26, v4
	v_mul_lo_u32 v11, s0, v5
	v_add_nc_u32_e32 v6, v6, v11
	v_mul_lo_u32 v11, s0, v4
	v_add_nc_u32_e32 v6, v6, v12
	v_mul_hi_u32 v12, v4, v11
	v_mul_lo_u32 v13, v4, v6
	v_mul_hi_u32 v14, v4, v6
	v_mul_hi_u32 v15, v5, v11
	v_mul_lo_u32 v11, v5, v11
	v_mul_hi_u32 v16, v5, v6
	v_mul_lo_u32 v6, v5, v6
	v_add_co_u32 v12, vcc_lo, v12, v13
	v_add_co_ci_u32_e32 v13, vcc_lo, 0, v14, vcc_lo
	v_add_co_u32 v11, vcc_lo, v12, v11
	v_add_co_ci_u32_e32 v11, vcc_lo, v13, v15, vcc_lo
	v_add_co_ci_u32_e32 v12, vcc_lo, 0, v16, vcc_lo
	v_add_co_u32 v6, vcc_lo, v11, v6
	v_add_co_ci_u32_e32 v11, vcc_lo, 0, v12, vcc_lo
	v_add_co_u32 v6, vcc_lo, v4, v6
	v_add_co_ci_u32_e32 v13, vcc_lo, v5, v11, vcc_lo
	v_mul_hi_u32 v15, v9, v6
	v_mad_u64_u32 v[11:12], null, v10, v6, 0
	v_mad_u64_u32 v[4:5], null, v9, v13, 0
	;; [unrolled: 1-line block ×3, first 2 shown]
	v_add_co_u32 v4, vcc_lo, v15, v4
	v_add_co_ci_u32_e32 v5, vcc_lo, 0, v5, vcc_lo
	v_add_co_u32 v4, vcc_lo, v4, v11
	v_add_co_ci_u32_e32 v4, vcc_lo, v5, v12, vcc_lo
	v_add_co_ci_u32_e32 v5, vcc_lo, 0, v14, vcc_lo
	v_add_co_u32 v11, vcc_lo, v4, v13
	v_add_co_ci_u32_e32 v6, vcc_lo, 0, v5, vcc_lo
	v_mul_lo_u32 v12, s25, v11
	v_mad_u64_u32 v[4:5], null, s24, v11, 0
	v_mul_lo_u32 v13, s24, v6
	v_sub_co_u32 v4, vcc_lo, v9, v4
	v_add3_u32 v5, v5, v13, v12
	v_sub_nc_u32_e32 v12, v10, v5
	v_subrev_co_ci_u32_e64 v12, s0, s25, v12, vcc_lo
	v_add_co_u32 v13, s0, v11, 2
	v_add_co_ci_u32_e64 v14, s0, 0, v6, s0
	v_sub_co_u32 v15, s0, v4, s24
	v_sub_co_ci_u32_e32 v5, vcc_lo, v10, v5, vcc_lo
	v_subrev_co_ci_u32_e64 v12, s0, 0, v12, s0
	v_cmp_le_u32_e32 vcc_lo, s24, v15
	v_cmp_eq_u32_e64 s0, s25, v5
	v_cndmask_b32_e64 v15, 0, -1, vcc_lo
	v_cmp_le_u32_e32 vcc_lo, s25, v12
	v_cndmask_b32_e64 v16, 0, -1, vcc_lo
	v_cmp_le_u32_e32 vcc_lo, s24, v4
	;; [unrolled: 2-line block ×3, first 2 shown]
	v_cndmask_b32_e64 v17, 0, -1, vcc_lo
	v_cmp_eq_u32_e32 vcc_lo, s25, v12
	v_cndmask_b32_e64 v4, v17, v4, s0
	v_cndmask_b32_e32 v12, v16, v15, vcc_lo
	v_add_co_u32 v15, vcc_lo, v11, 1
	v_add_co_ci_u32_e32 v16, vcc_lo, 0, v6, vcc_lo
	v_cmp_ne_u32_e32 vcc_lo, 0, v12
	v_cndmask_b32_e32 v5, v16, v14, vcc_lo
	v_cndmask_b32_e32 v12, v15, v13, vcc_lo
	v_cmp_ne_u32_e32 vcc_lo, 0, v4
	v_cndmask_b32_e32 v6, v6, v5, vcc_lo
	v_cndmask_b32_e32 v5, v11, v12, vcc_lo
.LBB0_4:                                ;   in Loop: Header=BB0_2 Depth=1
	s_andn2_saveexec_b32 s0, s1
	s_cbranch_execz .LBB0_6
; %bb.5:                                ;   in Loop: Header=BB0_2 Depth=1
	v_cvt_f32_u32_e32 v4, s24
	s_sub_i32 s1, 0, s24
	v_rcp_iflag_f32_e32 v4, v4
	v_mul_f32_e32 v4, 0x4f7ffffe, v4
	v_cvt_u32_f32_e32 v4, v4
	v_mul_lo_u32 v5, s1, v4
	v_mul_hi_u32 v5, v4, v5
	v_add_nc_u32_e32 v4, v4, v5
	v_mul_hi_u32 v4, v9, v4
	v_mul_lo_u32 v5, v4, s24
	v_add_nc_u32_e32 v6, 1, v4
	v_sub_nc_u32_e32 v5, v9, v5
	v_subrev_nc_u32_e32 v11, s24, v5
	v_cmp_le_u32_e32 vcc_lo, s24, v5
	v_cndmask_b32_e32 v5, v5, v11, vcc_lo
	v_cndmask_b32_e32 v4, v4, v6, vcc_lo
	v_cmp_le_u32_e32 vcc_lo, s24, v5
	v_add_nc_u32_e32 v6, 1, v4
	v_cndmask_b32_e32 v5, v4, v6, vcc_lo
	v_mov_b32_e32 v6, v3
.LBB0_6:                                ;   in Loop: Header=BB0_2 Depth=1
	s_or_b32 exec_lo, exec_lo, s0
	v_mul_lo_u32 v4, v6, s24
	v_mul_lo_u32 v13, v5, s25
	s_load_dwordx2 s[0:1], s[6:7], 0x0
	v_mad_u64_u32 v[11:12], null, v5, s24, 0
	s_load_dwordx2 s[24:25], s[2:3], 0x0
	s_add_u32 s22, s22, 1
	s_addc_u32 s23, s23, 0
	s_add_u32 s2, s2, 8
	s_addc_u32 s3, s3, 0
	s_add_u32 s6, s6, 8
	v_add3_u32 v4, v12, v13, v4
	v_sub_co_u32 v9, vcc_lo, v9, v11
	s_addc_u32 s7, s7, 0
	s_add_u32 s20, s20, 8
	v_sub_co_ci_u32_e32 v4, vcc_lo, v10, v4, vcc_lo
	s_addc_u32 s21, s21, 0
	s_waitcnt lgkmcnt(0)
	v_mul_lo_u32 v10, s0, v4
	v_mul_lo_u32 v11, s1, v9
	v_mad_u64_u32 v[7:8], null, s0, v9, v[7:8]
	v_mul_lo_u32 v4, s24, v4
	v_mul_lo_u32 v12, s25, v9
	v_mad_u64_u32 v[1:2], null, s24, v9, v[1:2]
	v_cmp_ge_u64_e64 s0, s[22:23], s[14:15]
	v_add3_u32 v8, v11, v8, v10
	v_add3_u32 v2, v12, v2, v4
	s_and_b32 vcc_lo, exec_lo, s0
	s_cbranch_vccnz .LBB0_9
; %bb.7:                                ;   in Loop: Header=BB0_2 Depth=1
	v_mov_b32_e32 v10, v6
	v_mov_b32_e32 v9, v5
	s_branch .LBB0_2
.LBB0_8:
	v_mov_b32_e32 v1, v7
	v_mov_b32_e32 v5, v9
	;; [unrolled: 1-line block ×4, first 2 shown]
.LBB0_9:
	s_load_dwordx2 s[0:1], s[4:5], 0x28
	v_mul_hi_u32 v4, 0x4bda130, v0
	s_lshl_b64 s[4:5], s[14:15], 3
                                        ; implicit-def: $vgpr3
	s_add_u32 s2, s18, s4
	s_addc_u32 s3, s19, s5
	s_waitcnt lgkmcnt(0)
	v_cmp_gt_u64_e32 vcc_lo, s[0:1], v[5:6]
	v_cmp_le_u64_e64 s0, s[0:1], v[5:6]
	s_and_saveexec_b32 s1, s0
	s_xor_b32 s0, exec_lo, s1
; %bb.10:
	v_mul_u32_u24_e32 v3, 54, v4
                                        ; implicit-def: $vgpr4
                                        ; implicit-def: $vgpr7_vgpr8
	v_sub_nc_u32_e32 v3, v0, v3
                                        ; implicit-def: $vgpr0
; %bb.11:
	s_or_saveexec_b32 s1, s0
	s_load_dwordx2 s[2:3], s[2:3], 0x0
	s_xor_b32 exec_lo, exec_lo, s1
	s_cbranch_execz .LBB0_15
; %bb.12:
	s_add_u32 s4, s16, s4
	s_addc_u32 s5, s17, s5
	v_lshlrev_b64 v[7:8], 2, v[7:8]
	s_load_dwordx2 s[4:5], s[4:5], 0x0
	s_waitcnt lgkmcnt(0)
	v_mul_lo_u32 v3, s5, v5
	v_mul_lo_u32 v11, s4, v6
	v_mad_u64_u32 v[9:10], null, s4, v5, 0
	s_mov_b32 s4, exec_lo
	v_add3_u32 v10, v10, v11, v3
	v_mul_u32_u24_e32 v3, 54, v4
	v_lshlrev_b64 v[9:10], 2, v[9:10]
	v_sub_nc_u32_e32 v3, v0, v3
	v_lshlrev_b32_e32 v11, 2, v3
	v_add_co_u32 v0, s0, s8, v9
	v_add_co_ci_u32_e64 v4, s0, s9, v10, s0
	v_add_co_u32 v0, s0, v0, v7
	v_add_co_ci_u32_e64 v4, s0, v4, v8, s0
	;; [unrolled: 2-line block ×4, first 2 shown]
	s_clause 0xf
	global_load_dword v12, v[7:8], off
	global_load_dword v13, v[7:8], off offset:216
	global_load_dword v14, v[7:8], off offset:432
	;; [unrolled: 1-line block ×15, first 2 shown]
	v_add_nc_u32_e32 v10, 0, v11
	v_add_nc_u32_e32 v11, 0x200, v10
	;; [unrolled: 1-line block ×5, first 2 shown]
	s_waitcnt vmcnt(14)
	ds_write2_b32 v10, v12, v13 offset1:54
	s_waitcnt vmcnt(12)
	ds_write2_b32 v10, v14, v15 offset0:108 offset1:162
	s_waitcnt vmcnt(10)
	ds_write2_b32 v11, v16, v17 offset0:88 offset1:142
	;; [unrolled: 2-line block ×7, first 2 shown]
	v_cmpx_eq_u32_e32 53, v3
	s_cbranch_execz .LBB0_14
; %bb.13:
	v_add_co_u32 v3, s0, 0x800, v0
	v_add_co_ci_u32_e64 v4, s0, 0, v4, s0
	global_load_dword v0, v[3:4], off offset:1408
	v_mov_b32_e32 v4, 0
	v_mov_b32_e32 v3, 53
	s_waitcnt vmcnt(0)
	ds_write_b32 v4, v0 offset:3456
.LBB0_14:
	s_or_b32 exec_lo, exec_lo, s4
.LBB0_15:
	s_or_b32 exec_lo, exec_lo, s1
	v_lshlrev_b32_e32 v4, 2, v3
	s_waitcnt lgkmcnt(0)
	s_barrier
	buffer_gl0_inv
	s_add_u32 s1, s12, 0xd74
	v_add_nc_u32_e32 v0, 0, v4
	v_sub_nc_u32_e32 v9, 0, v4
	s_addc_u32 s4, s13, 0
	s_mov_b32 s5, exec_lo
                                        ; implicit-def: $vgpr7_vgpr8
	ds_read_u16 v12, v0
	ds_read_u16 v13, v9 offset:3456
	s_waitcnt lgkmcnt(0)
	v_add_f16_e32 v11, v13, v12
	v_sub_f16_e32 v10, v12, v13
	v_cmpx_ne_u32_e32 0, v3
	s_xor_b32 s5, exec_lo, s5
	s_cbranch_execz .LBB0_17
; %bb.16:
	v_mov_b32_e32 v4, 0
	v_add_f16_e32 v11, v13, v12
	v_sub_f16_e32 v12, v12, v13
	v_lshlrev_b64 v[7:8], 2, v[3:4]
	v_add_co_u32 v7, s0, s1, v7
	v_add_co_ci_u32_e64 v8, s0, s4, v8, s0
	global_load_dword v7, v[7:8], off
	ds_read_u16 v8, v9 offset:3458
	ds_read_u16 v10, v0 offset:2
	s_waitcnt lgkmcnt(0)
	v_add_f16_e32 v13, v8, v10
	v_sub_f16_e32 v8, v10, v8
	s_waitcnt vmcnt(0)
	v_lshrrev_b32_e32 v14, 16, v7
	v_fma_f16 v15, -v12, v14, v11
	v_fma_f16 v16, v13, v14, -v8
	v_fma_f16 v10, v13, v14, v8
	v_fma_f16 v11, v12, v14, v11
	v_fmac_f16_e32 v15, v7, v13
	v_fmac_f16_e32 v16, v12, v7
	;; [unrolled: 1-line block ×3, first 2 shown]
	v_fma_f16 v11, -v7, v13, v11
	v_mov_b32_e32 v8, v4
	v_mov_b32_e32 v7, v3
	v_pack_b32_f16 v12, v15, v16
	ds_write_b32 v9, v12 offset:3456
.LBB0_17:
	s_andn2_saveexec_b32 s0, s5
	s_cbranch_execz .LBB0_19
; %bb.18:
	v_mov_b32_e32 v4, 0
	ds_read_b32 v7, v4 offset:1728
	s_waitcnt lgkmcnt(0)
	v_pk_mul_f16 v12, 0xc0004000, v7
	v_mov_b32_e32 v7, 0
	v_mov_b32_e32 v8, 0
	ds_write_b32 v4, v12 offset:1728
.LBB0_19:
	s_or_b32 exec_lo, exec_lo, s0
	v_lshlrev_b64 v[7:8], 2, v[7:8]
	v_add_co_u32 v7, s0, s1, v7
	v_add_co_ci_u32_e64 v8, s0, s4, v8, s0
	v_cmp_gt_u32_e64 s0, 18, v3
	s_clause 0x6
	global_load_dword v4, v[7:8], off offset:216
	global_load_dword v12, v[7:8], off offset:432
	;; [unrolled: 1-line block ×7, first 2 shown]
	v_perm_b32 v8, v10, v11, 0x5040100
	ds_write_b32 v0, v8
	ds_read_b32 v8, v0 offset:216
	ds_read_b32 v10, v9 offset:3240
	s_waitcnt lgkmcnt(0)
	v_add_f16_e32 v11, v8, v10
	v_add_f16_sdwa v17, v10, v8 dst_sel:DWORD dst_unused:UNUSED_PAD src0_sel:WORD_1 src1_sel:WORD_1
	v_sub_f16_e32 v18, v8, v10
	v_sub_f16_sdwa v8, v8, v10 dst_sel:DWORD dst_unused:UNUSED_PAD src0_sel:WORD_1 src1_sel:WORD_1
	s_waitcnt vmcnt(6)
	v_lshrrev_b32_e32 v19, 16, v4
	v_fma_f16 v10, v18, v19, v11
	v_fma_f16 v20, v17, v19, v8
	v_fma_f16 v11, -v18, v19, v11
	v_fma_f16 v8, v17, v19, -v8
	v_fma_f16 v10, -v4, v17, v10
	v_fmac_f16_e32 v20, v18, v4
	v_fmac_f16_e32 v11, v4, v17
	;; [unrolled: 1-line block ×3, first 2 shown]
	v_pack_b32_f16 v4, v10, v20
	s_waitcnt vmcnt(5)
	v_lshrrev_b32_e32 v10, 16, v12
	v_pack_b32_f16 v8, v11, v8
	ds_write_b32 v0, v4 offset:216
	ds_write_b32 v9, v8 offset:3240
	ds_read_b32 v4, v0 offset:432
	ds_read_b32 v8, v9 offset:3024
	s_waitcnt lgkmcnt(0)
	v_add_f16_e32 v11, v4, v8
	v_add_f16_sdwa v17, v8, v4 dst_sel:DWORD dst_unused:UNUSED_PAD src0_sel:WORD_1 src1_sel:WORD_1
	v_sub_f16_e32 v18, v4, v8
	v_sub_f16_sdwa v4, v4, v8 dst_sel:DWORD dst_unused:UNUSED_PAD src0_sel:WORD_1 src1_sel:WORD_1
	v_fma_f16 v8, v18, v10, v11
	v_fma_f16 v19, v17, v10, v4
	v_fma_f16 v11, -v18, v10, v11
	v_fma_f16 v4, v17, v10, -v4
	s_waitcnt vmcnt(4)
	v_lshrrev_b32_e32 v10, 16, v13
	v_fma_f16 v8, -v12, v17, v8
	v_fmac_f16_e32 v19, v18, v12
	v_fmac_f16_e32 v11, v12, v17
	v_fmac_f16_e32 v4, v18, v12
	v_pack_b32_f16 v8, v8, v19
	v_pack_b32_f16 v4, v11, v4
	ds_write_b32 v0, v8 offset:432
	ds_write_b32 v9, v4 offset:3024
	ds_read_b32 v4, v0 offset:648
	ds_read_b32 v8, v9 offset:2808
	s_waitcnt lgkmcnt(0)
	v_add_f16_e32 v11, v4, v8
	v_add_f16_sdwa v12, v8, v4 dst_sel:DWORD dst_unused:UNUSED_PAD src0_sel:WORD_1 src1_sel:WORD_1
	v_sub_f16_e32 v17, v4, v8
	v_sub_f16_sdwa v4, v4, v8 dst_sel:DWORD dst_unused:UNUSED_PAD src0_sel:WORD_1 src1_sel:WORD_1
	v_fma_f16 v8, v17, v10, v11
	v_fma_f16 v18, v12, v10, v4
	v_fma_f16 v11, -v17, v10, v11
	v_fma_f16 v4, v12, v10, -v4
	s_waitcnt vmcnt(3)
	v_lshrrev_b32_e32 v10, 16, v14
	v_fma_f16 v8, -v13, v12, v8
	v_fmac_f16_e32 v18, v17, v13
	v_fmac_f16_e32 v11, v13, v12
	v_fmac_f16_e32 v4, v17, v13
	v_pack_b32_f16 v8, v8, v18
	v_pack_b32_f16 v4, v11, v4
	ds_write_b32 v0, v8 offset:648
	ds_write_b32 v9, v4 offset:2808
	ds_read_b32 v4, v0 offset:864
	ds_read_b32 v8, v9 offset:2592
	s_waitcnt lgkmcnt(0)
	v_add_f16_e32 v11, v4, v8
	v_add_f16_sdwa v12, v8, v4 dst_sel:DWORD dst_unused:UNUSED_PAD src0_sel:WORD_1 src1_sel:WORD_1
	v_sub_f16_e32 v13, v4, v8
	v_sub_f16_sdwa v4, v4, v8 dst_sel:DWORD dst_unused:UNUSED_PAD src0_sel:WORD_1 src1_sel:WORD_1
	v_fma_f16 v8, v13, v10, v11
	v_fma_f16 v17, v12, v10, v4
	v_fma_f16 v11, -v13, v10, v11
	v_fma_f16 v4, v12, v10, -v4
	s_waitcnt vmcnt(2)
	v_lshrrev_b32_e32 v10, 16, v15
	v_fma_f16 v8, -v14, v12, v8
	v_fmac_f16_e32 v17, v13, v14
	v_fmac_f16_e32 v11, v14, v12
	v_fmac_f16_e32 v4, v13, v14
	v_pack_b32_f16 v8, v8, v17
	v_pack_b32_f16 v4, v11, v4
	ds_write_b32 v0, v8 offset:864
	ds_write_b32 v9, v4 offset:2592
	ds_read_b32 v4, v0 offset:1080
	ds_read_b32 v8, v9 offset:2376
	s_waitcnt lgkmcnt(0)
	v_add_f16_e32 v11, v4, v8
	v_add_f16_sdwa v12, v8, v4 dst_sel:DWORD dst_unused:UNUSED_PAD src0_sel:WORD_1 src1_sel:WORD_1
	v_sub_f16_e32 v13, v4, v8
	v_sub_f16_sdwa v4, v4, v8 dst_sel:DWORD dst_unused:UNUSED_PAD src0_sel:WORD_1 src1_sel:WORD_1
	v_fma_f16 v8, v13, v10, v11
	v_fma_f16 v14, v12, v10, v4
	v_fma_f16 v11, -v13, v10, v11
	v_fma_f16 v4, v12, v10, -v4
	s_waitcnt vmcnt(1)
	v_lshrrev_b32_e32 v10, 16, v16
	v_fma_f16 v8, -v15, v12, v8
	v_fmac_f16_e32 v14, v13, v15
	v_fmac_f16_e32 v11, v15, v12
	v_fmac_f16_e32 v4, v13, v15
	v_pack_b32_f16 v8, v8, v14
	v_pack_b32_f16 v4, v11, v4
	ds_write_b32 v0, v8 offset:1080
	ds_write_b32 v9, v4 offset:2376
	ds_read_b32 v4, v0 offset:1296
	ds_read_b32 v8, v9 offset:2160
	s_waitcnt lgkmcnt(0)
	v_add_f16_e32 v11, v4, v8
	v_add_f16_sdwa v12, v8, v4 dst_sel:DWORD dst_unused:UNUSED_PAD src0_sel:WORD_1 src1_sel:WORD_1
	v_sub_f16_e32 v13, v4, v8
	v_sub_f16_sdwa v4, v4, v8 dst_sel:DWORD dst_unused:UNUSED_PAD src0_sel:WORD_1 src1_sel:WORD_1
	v_fma_f16 v8, v13, v10, v11
	v_fma_f16 v14, v12, v10, v4
	v_fma_f16 v11, -v13, v10, v11
	v_fma_f16 v4, v12, v10, -v4
	s_waitcnt vmcnt(0)
	v_lshrrev_b32_e32 v10, 16, v7
	v_fma_f16 v8, -v16, v12, v8
	v_fmac_f16_e32 v14, v13, v16
	v_fmac_f16_e32 v11, v16, v12
	v_fmac_f16_e32 v4, v13, v16
	v_pack_b32_f16 v8, v8, v14
	v_pack_b32_f16 v4, v11, v4
	ds_write_b32 v0, v8 offset:1296
	ds_write_b32 v9, v4 offset:2160
	ds_read_b32 v4, v0 offset:1512
	ds_read_b32 v8, v9 offset:1944
	s_waitcnt lgkmcnt(0)
	v_add_f16_e32 v11, v4, v8
	v_add_f16_sdwa v12, v8, v4 dst_sel:DWORD dst_unused:UNUSED_PAD src0_sel:WORD_1 src1_sel:WORD_1
	v_sub_f16_e32 v13, v4, v8
	v_sub_f16_sdwa v4, v4, v8 dst_sel:DWORD dst_unused:UNUSED_PAD src0_sel:WORD_1 src1_sel:WORD_1
	v_fma_f16 v8, v13, v10, v11
	v_fma_f16 v14, v12, v10, v4
	v_fma_f16 v11, -v13, v10, v11
	v_fma_f16 v4, v12, v10, -v4
	v_fma_f16 v8, -v7, v12, v8
	v_fmac_f16_e32 v14, v13, v7
	v_fmac_f16_e32 v11, v7, v12
	;; [unrolled: 1-line block ×3, first 2 shown]
	v_add_nc_u32_e32 v7, 0x200, v0
	v_add_nc_u32_e32 v12, 0x600, v0
	v_pack_b32_f16 v8, v8, v14
	v_add_nc_u32_e32 v14, 0xc00, v0
	v_pack_b32_f16 v10, v11, v4
	v_add_nc_u32_e32 v4, 0x400, v0
	ds_write_b32 v0, v8 offset:1512
	ds_write_b32 v9, v10 offset:1944
	v_add_nc_u32_e32 v8, 0x800, v0
	s_waitcnt lgkmcnt(0)
	s_barrier
	buffer_gl0_inv
	s_barrier
	buffer_gl0_inv
	ds_read2_b32 v[10:11], v7 offset0:88 offset1:142
	ds_read2_b32 v[12:13], v12 offset0:120 offset1:174
	;; [unrolled: 1-line block ×3, first 2 shown]
	ds_read2_b32 v[16:17], v0 offset1:54
	ds_read2_b32 v[18:19], v4 offset0:32 offset1:86
	ds_read2_b32 v[20:21], v8 offset0:64 offset1:118
	;; [unrolled: 1-line block ×5, first 2 shown]
	v_lshl_add_u32 v9, v3, 3, v0
	s_waitcnt lgkmcnt(0)
	s_barrier
	buffer_gl0_inv
	v_add_nc_u32_e32 v29, 0x510, v9
	v_add_nc_u32_e32 v30, 0x798, v9
	;; [unrolled: 1-line block ×4, first 2 shown]
	v_pk_add_f16 v7, v10, v12
	v_pk_add_f16 v28, v12, v14
	v_pk_add_f16 v33, v12, v14 neg_lo:[0,1] neg_hi:[0,1]
	v_pk_add_f16 v12, v11, v13
	v_pk_add_f16 v34, v13, v15
	v_pk_add_f16 v13, v13, v15 neg_lo:[0,1] neg_hi:[0,1]
	;; [unrolled: 3-line block ×6, first 2 shown]
	v_pk_add_f16 v7, v7, v14
	v_pk_fma_f16 v10, v28, 0.5, v10 op_sel_hi:[1,0,1] neg_lo:[1,0,0] neg_hi:[1,0,0]
	v_pk_fma_f16 v11, v34, 0.5, v11 op_sel_hi:[1,0,1] neg_lo:[1,0,0] neg_hi:[1,0,0]
	v_pk_mul_f16 v14, 0x3aee, v13 op_sel_hi:[0,1]
	v_pk_fma_f16 v16, v36, 0.5, v16 op_sel_hi:[1,0,1] neg_lo:[1,0,0] neg_hi:[1,0,0]
	v_pk_mul_f16 v18, 0x3aee, v18 op_sel_hi:[0,1]
	v_pk_fma_f16 v17, v38, 0.5, v17 op_sel_hi:[1,0,1] neg_lo:[1,0,0] neg_hi:[1,0,0]
	v_pk_mul_f16 v19, 0x3aee, v19 op_sel_hi:[0,1]
	v_pk_fma_f16 v22, v40, 0.5, v22 op_sel_hi:[1,0,1] neg_lo:[1,0,0] neg_hi:[1,0,0]
	v_pk_mul_f16 v24, 0x3aee, v24 op_sel_hi:[0,1]
	v_pk_fma_f16 v23, v42, 0.5, v23 op_sel_hi:[1,0,1] neg_lo:[1,0,0] neg_hi:[1,0,0]
	v_pk_mul_f16 v25, 0x3aee, v25 op_sel_hi:[0,1]
	v_pk_add_f16 v12, v12, v15
	v_pk_add_f16 v15, v35, v20
	;; [unrolled: 1-line block ×4, first 2 shown]
	v_pk_fma_f16 v26, 0x3aee, v33, v10 op_sel:[0,0,1] op_sel_hi:[0,1,0] neg_lo:[0,1,0] neg_hi:[0,1,0]
	v_pk_fma_f16 v28, 0x3aee, v33, v10 op_sel:[0,0,1] op_sel_hi:[0,1,0]
	v_pk_add_f16 v13, v11, v14 op_sel:[0,1] op_sel_hi:[1,0] neg_lo:[0,1] neg_hi:[0,1]
	v_pk_add_f16 v14, v11, v14 op_sel:[0,1] op_sel_hi:[1,0]
	v_pk_add_f16 v10, v16, v18 op_sel:[0,1] op_sel_hi:[1,0] neg_lo:[0,1] neg_hi:[0,1]
	v_pk_add_f16 v11, v16, v18 op_sel:[0,1] op_sel_hi:[1,0]
	;; [unrolled: 2-line block ×5, first 2 shown]
	v_pk_add_f16 v34, v41, v27
	v_lshrrev_b32_e32 v27, 16, v13
	v_bfi_b32 v24, 0xffff, v10, v11
	v_bfi_b32 v10, 0xffff, v11, v10
	;; [unrolled: 1-line block ×7, first 2 shown]
	ds_write_b32 v9, v7 offset:2592
	v_bfi_b32 v22, 0xffff, v23, v22
	v_alignbit_b32 v23, v26, v28, 16
	v_alignbit_b32 v25, v28, v26, 16
	ds_write2_b32 v9, v15, v24 offset1:1
	ds_write2_b32 v9, v20, v11 offset0:162 offset1:163
	ds_write2_b32 v9, v10, v16 offset0:2 offset1:164
	ds_write2_b32 v29, v21, v17 offset1:1
	ds_write2_b32 v30, v34, v19 offset1:1
	ds_write2_b32 v31, v18, v22 offset0:70 offset1:232
	ds_write2_b32 v32, v25, v23 offset1:1
	s_and_saveexec_b32 s1, s0
	s_cbranch_execz .LBB0_21
; %bb.20:
	v_add_nc_u32_e32 v10, 0xcac, v9
	v_bfi_b32 v11, 0xffff, v13, v14
	v_perm_b32 v15, v27, v14, 0x5040100
	ds_write_b32 v9, v12 offset:3240
	ds_write2_b32 v10, v11, v15 offset1:1
.LBB0_21:
	s_or_b32 exec_lo, exec_lo, s1
	v_add_nc_u32_e32 v11, 0xa00, v0
	s_waitcnt lgkmcnt(0)
	s_barrier
	buffer_gl0_inv
	ds_read2_b32 v[9:10], v0 offset1:54
	ds_read2_b32 v[23:24], v0 offset0:144 offset1:198
	ds_read2_b32 v[21:22], v4 offset0:32 offset1:86
	;; [unrolled: 1-line block ×5, first 2 shown]
	v_lshrrev_b32_e32 v8, 16, v26
	v_cmp_gt_u32_e64 s1, 36, v3
	s_and_saveexec_b32 s4, s1
	s_cbranch_execz .LBB0_23
; %bb.22:
	v_add_nc_u32_e32 v4, 0x600, v0
	ds_read2_b32 v[13:14], v11 offset0:44 offset1:188
	ds_read2_b32 v[11:12], v4 offset0:12 offset1:156
	ds_read2_b32 v[7:8], v0 offset0:108 offset1:252
	s_waitcnt lgkmcnt(2)
	v_lshrrev_b32_e32 v27, 16, v14
	s_waitcnt lgkmcnt(1)
	v_lshrrev_b32_e32 v26, 16, v11
	s_waitcnt lgkmcnt(0)
	v_alignbit_b32 v28, v11, v8, 16
	v_bfi_b32 v14, 0xffff, v14, v13
.LBB0_23:
	s_or_b32 exec_lo, exec_lo, s4
	v_and_b32_e32 v11, 0xff, v3
	v_mov_b32_e32 v39, 5
	s_waitcnt lgkmcnt(4)
	v_lshrrev_b32_e32 v51, 16, v23
	s_waitcnt lgkmcnt(3)
	v_lshrrev_b32_e32 v52, 16, v21
	;; [unrolled: 2-line block ×3, first 2 shown]
	v_mul_lo_u16 v4, 0xab, v11
	s_waitcnt lgkmcnt(1)
	v_lshrrev_b32_e32 v54, 16, v17
	v_lshrrev_b32_e32 v55, 16, v24
	;; [unrolled: 1-line block ×3, first 2 shown]
	s_waitcnt lgkmcnt(0)
	v_lshrrev_b32_e32 v62, 16, v15
	v_lshrrev_b16 v43, 9, v4
	v_add_nc_u32_e32 v4, 54, v3
	v_lshrrev_b32_e32 v50, 16, v9
	v_mul_lo_u16 v25, v43, 3
	v_and_b32_e32 v29, 0xff, v4
	v_sub_nc_u16 v44, v3, v25
	v_mul_lo_u16 v25, 0xab, v29
	v_mul_u32_u24_sdwa v29, v44, v39 dst_sel:DWORD dst_unused:UNUSED_PAD src0_sel:BYTE_0 src1_sel:DWORD
	v_lshrrev_b16 v45, 9, v25
	v_lshlrev_b32_e32 v40, 2, v29
	v_mul_lo_u16 v25, v45, 3
	s_clause 0x1
	global_load_dwordx4 v[31:34], v40, s[12:13]
	global_load_dword v47, v40, s[12:13] offset:16
	v_sub_nc_u16 v46, v4, v25
	v_mul_u32_u24_sdwa v25, v46, v39 dst_sel:DWORD dst_unused:UNUSED_PAD src0_sel:BYTE_0 src1_sel:DWORD
	v_lshlrev_b32_e32 v41, 2, v25
	v_add_nc_u32_e32 v25, 0x6c, v3
	global_load_dwordx4 v[35:38], v41, s[12:13]
	v_and_b32_e32 v29, 0xff, v25
	v_mul_lo_u16 v29, 0xab, v29
	v_lshrrev_b16 v29, 9, v29
	v_mul_lo_u16 v30, v29, 3
	v_sub_nc_u16 v30, v25, v30
	v_mul_u32_u24_sdwa v39, v30, v39 dst_sel:DWORD dst_unused:UNUSED_PAD src0_sel:BYTE_0 src1_sel:DWORD
	v_lshlrev_b32_e32 v48, 2, v39
	s_clause 0x2
	global_load_dword v49, v41, s[12:13] offset:16
	global_load_dwordx4 v[39:42], v48, s[12:13]
	global_load_dword v48, v48, s[12:13] offset:16
	s_waitcnt vmcnt(0)
	s_barrier
	buffer_gl0_inv
	v_mul_f16_sdwa v57, v31, v23 dst_sel:DWORD dst_unused:UNUSED_PAD src0_sel:WORD_1 src1_sel:DWORD
	v_mul_f16_sdwa v61, v33, v19 dst_sel:DWORD dst_unused:UNUSED_PAD src0_sel:WORD_1 src1_sel:DWORD
	;; [unrolled: 1-line block ×5, first 2 shown]
	v_fma_f16 v51, v31, v51, -v57
	v_mul_f16_sdwa v57, v33, v53 dst_sel:DWORD dst_unused:UNUSED_PAD src0_sel:WORD_1 src1_sel:DWORD
	v_fma_f16 v53, v33, v53, -v61
	v_mul_f16_sdwa v61, v34, v17 dst_sel:DWORD dst_unused:UNUSED_PAD src0_sel:WORD_1 src1_sel:DWORD
	;; [unrolled: 2-line block ×3, first 2 shown]
	v_fmac_f16_e32 v58, v31, v23
	v_fmac_f16_e32 v60, v32, v21
	;; [unrolled: 1-line block ×3, first 2 shown]
	v_fma_f16 v23, v34, v54, -v61
	v_lshrrev_b32_e32 v19, 16, v20
	v_lshrrev_b32_e32 v21, 16, v18
	v_mul_f16_sdwa v54, v35, v55 dst_sel:DWORD dst_unused:UNUSED_PAD src0_sel:WORD_1 src1_sel:DWORD
	v_fmac_f16_e32 v59, v34, v17
	v_mul_f16_sdwa v17, v35, v24 dst_sel:DWORD dst_unused:UNUSED_PAD src0_sel:WORD_1 src1_sel:DWORD
	v_mul_f16_sdwa v32, v36, v56 dst_sel:DWORD dst_unused:UNUSED_PAD src0_sel:WORD_1 src1_sel:DWORD
	v_mul_f16_sdwa v33, v21, v38 dst_sel:DWORD dst_unused:UNUSED_PAD src0_sel:DWORD src1_sel:WORD_1
	v_fmac_f16_e32 v54, v35, v24
	v_mul_f16_sdwa v24, v37, v19 dst_sel:DWORD dst_unused:UNUSED_PAD src0_sel:WORD_1 src1_sel:DWORD
	v_mul_f16_sdwa v34, v18, v38 dst_sel:DWORD dst_unused:UNUSED_PAD src0_sel:DWORD src1_sel:WORD_1
	v_fma_f16 v35, v35, v55, -v17
	v_fmac_f16_e32 v33, v18, v38
	v_mov_b32_e32 v17, 0x48
	v_fmac_f16_e32 v24, v37, v20
	v_mul_f16_sdwa v20, v37, v20 dst_sel:DWORD dst_unused:UNUSED_PAD src0_sel:WORD_1 src1_sel:DWORD
	v_mov_b32_e32 v18, 2
	v_mul_f16_sdwa v31, v36, v22 dst_sel:DWORD dst_unused:UNUSED_PAD src0_sel:WORD_1 src1_sel:DWORD
	v_fmac_f16_e32 v32, v36, v22
	v_lshrrev_b32_e32 v22, 16, v16
	v_fma_f16 v37, v37, v19, -v20
	v_mul_u32_u24_sdwa v20, v43, v17 dst_sel:DWORD dst_unused:UNUSED_PAD src0_sel:WORD_0 src1_sel:DWORD
	v_mul_u32_u24_sdwa v43, v45, v17 dst_sel:DWORD dst_unused:UNUSED_PAD src0_sel:WORD_0 src1_sel:DWORD
	v_lshlrev_b32_sdwa v44, v18, v44 dst_sel:DWORD dst_unused:UNUSED_PAD src0_sel:DWORD src1_sel:BYTE_0
	v_lshlrev_b32_sdwa v45, v18, v46 dst_sel:DWORD dst_unused:UNUSED_PAD src0_sel:DWORD src1_sel:BYTE_0
	v_fma_f16 v34, v21, v38, -v34
	v_lshrrev_b32_e32 v38, 16, v12
	v_fma_f16 v36, v36, v56, -v31
	v_add3_u32 v44, 0, v20, v44
	v_add3_u32 v43, 0, v43, v45
	v_mul_f16_sdwa v45, v47, v62 dst_sel:DWORD dst_unused:UNUSED_PAD src0_sel:WORD_1 src1_sel:DWORD
	v_mul_f16_sdwa v20, v47, v15 dst_sel:DWORD dst_unused:UNUSED_PAD src0_sel:WORD_1 src1_sel:DWORD
	v_lshrrev_b32_e32 v31, 16, v28
	v_lshrrev_b32_e32 v46, 16, v14
	;; [unrolled: 1-line block ×3, first 2 shown]
	v_fmac_f16_e32 v45, v47, v15
	v_mul_f16_sdwa v55, v22, v49 dst_sel:DWORD dst_unused:UNUSED_PAD src0_sel:DWORD src1_sel:WORD_1
	v_fma_f16 v47, v47, v62, -v20
	v_mul_f16_sdwa v20, v16, v49 dst_sel:DWORD dst_unused:UNUSED_PAD src0_sel:DWORD src1_sel:WORD_1
	v_mul_f16_sdwa v56, v8, v39 dst_sel:DWORD dst_unused:UNUSED_PAD src0_sel:DWORD src1_sel:WORD_1
	;; [unrolled: 1-line block ×3, first 2 shown]
	v_fmac_f16_e32 v55, v16, v49
	v_mul_f16_sdwa v16, v38, v41 dst_sel:DWORD dst_unused:UNUSED_PAD src0_sel:DWORD src1_sel:WORD_1
	v_mul_f16_sdwa v21, v26, v40 dst_sel:DWORD dst_unused:UNUSED_PAD src0_sel:DWORD src1_sel:WORD_1
	v_fma_f16 v49, v22, v49, -v20
	v_mul_f16_sdwa v62, v31, v40 dst_sel:DWORD dst_unused:UNUSED_PAD src0_sel:DWORD src1_sel:WORD_1
	v_mul_f16_sdwa v63, v12, v41 dst_sel:DWORD dst_unused:UNUSED_PAD src0_sel:DWORD src1_sel:WORD_1
	v_fmac_f16_e32 v16, v12, v41
	v_mul_f16_sdwa v12, v46, v42 dst_sel:DWORD dst_unused:UNUSED_PAD src0_sel:DWORD src1_sel:WORD_1
	v_mul_f16_sdwa v64, v13, v42 dst_sel:DWORD dst_unused:UNUSED_PAD src0_sel:DWORD src1_sel:WORD_1
	v_fma_f16 v22, v28, v39, -v56
	v_mul_f16_sdwa v20, v27, v48 dst_sel:DWORD dst_unused:UNUSED_PAD src0_sel:DWORD src1_sel:WORD_1
	v_mul_f16_sdwa v56, v14, v48 dst_sel:DWORD dst_unused:UNUSED_PAD src0_sel:DWORD src1_sel:WORD_1
	v_fmac_f16_e32 v21, v31, v40
	v_fmac_f16_e32 v15, v8, v39
	v_fma_f16 v31, v26, v40, -v62
	v_fma_f16 v28, v38, v41, -v63
	v_fmac_f16_e32 v12, v13, v42
	v_fma_f16 v8, v46, v42, -v64
	v_fmac_f16_e32 v20, v14, v48
	v_fma_f16 v13, v27, v48, -v56
	v_add_f16_e32 v14, v9, v60
	v_add_f16_e32 v26, v60, v59
	v_sub_f16_e32 v27, v52, v23
	v_add_f16_e32 v38, v50, v52
	v_add_f16_e32 v39, v52, v23
	;; [unrolled: 1-line block ×5, first 2 shown]
	v_sub_f16_e32 v40, v60, v59
	v_sub_f16_e32 v46, v53, v47
	v_add_f16_e32 v48, v51, v53
	v_sub_f16_e32 v53, v57, v45
	v_add_f16_e32 v14, v14, v59
	v_fma_f16 v26, -0.5, v26, v9
	v_add_f16_e32 v9, v38, v23
	v_fmac_f16_e32 v50, -0.5, v39
	v_add_f16_e32 v23, v41, v45
	v_fmac_f16_e32 v58, -0.5, v42
	v_fmac_f16_e32 v51, -0.5, v52
	v_add_f16_e32 v41, v32, v33
	v_sub_f16_e32 v42, v36, v34
	v_add_f16_e32 v45, v61, v36
	v_add_f16_e32 v36, v36, v34
	v_sub_f16_e32 v52, v37, v49
	v_add_f16_e32 v56, v35, v37
	v_add_f16_e32 v37, v37, v49
	v_lshrrev_b32_e32 v19, 16, v7
	v_add_f16_e32 v38, v48, v47
	v_add_f16_e32 v39, v10, v32
	;; [unrolled: 1-line block ×3, first 2 shown]
	v_fmamk_f16 v60, v27, 0xbaee, v26
	v_fmac_f16_e32 v26, 0x3aee, v27
	v_fmamk_f16 v27, v40, 0x3aee, v50
	v_fmac_f16_e32 v50, 0xbaee, v40
	;; [unrolled: 2-line block ×4, first 2 shown]
	v_add_f16_e32 v53, v14, v23
	v_sub_f16_e32 v23, v14, v23
	v_add_f16_e32 v14, v31, v8
	v_fmac_f16_e32 v10, -0.5, v41
	v_add_f16_e32 v41, v16, v20
	v_fmac_f16_e32 v61, -0.5, v36
	v_add_f16_e32 v36, v28, v13
	v_add_f16_e32 v48, v24, v55
	v_sub_f16_e32 v24, v24, v55
	v_fmac_f16_e32 v35, -0.5, v37
	v_sub_f16_e32 v32, v32, v33
	v_add_f16_e32 v33, v39, v33
	v_sub_f16_e32 v39, v21, v12
	v_add_f16_e32 v34, v45, v34
	;; [unrolled: 2-line block ×3, first 2 shown]
	v_sub_f16_e32 v55, v16, v20
	v_fma_f16 v14, -0.5, v14, v19
	v_fma_f16 v41, -0.5, v41, v15
	;; [unrolled: 1-line block ×3, first 2 shown]
	v_add_f16_e32 v62, v9, v38
	v_sub_f16_e32 v38, v9, v38
	v_fmac_f16_e32 v54, -0.5, v48
	v_fmamk_f16 v36, v24, 0x3aee, v35
	v_add_f16_e32 v48, v56, v49
	v_mul_f16_e32 v49, 0xbaee, v46
	v_mul_f16_e32 v56, 0xbaee, v51
	v_mul_f16_e32 v46, 0.5, v46
	v_mul_f16_e32 v51, -0.5, v51
	v_fmac_f16_e32 v35, 0xbaee, v24
	v_add_f16_e32 v57, v21, v12
	v_add_f16_e32 v24, v33, v47
	v_sub_f16_e32 v47, v33, v47
	v_fmamk_f16 v33, v39, 0x3aee, v14
	v_fmac_f16_e32 v14, 0xbaee, v39
	v_fmamk_f16 v39, v45, 0xbaee, v41
	v_fmac_f16_e32 v41, 0x3aee, v45
	v_fmamk_f16 v45, v55, 0x3aee, v37
	v_fmac_f16_e32 v37, 0xbaee, v55
	v_fmamk_f16 v63, v52, 0xbaee, v54
	v_pack_b32_f16 v38, v23, v38
	v_mul_f16_e32 v23, 0xbaee, v36
	v_mul_f16_e32 v55, 0.5, v36
	v_fmac_f16_e32 v54, 0x3aee, v52
	v_fmac_f16_e32 v49, 0.5, v40
	v_fmac_f16_e32 v56, -0.5, v58
	v_fmac_f16_e32 v46, 0x3aee, v40
	v_fmac_f16_e32 v51, 0x3aee, v58
	v_mul_f16_e32 v40, 0xbaee, v35
	v_mul_f16_e32 v58, -0.5, v35
	v_sub_f16_e32 v59, v31, v8
	v_fma_f16 v9, -0.5, v57, v7
	v_add_f16_e32 v52, v34, v48
	v_sub_f16_e32 v48, v34, v48
	v_mul_f16_e32 v34, 0xbaee, v45
	v_mul_f16_e32 v35, 0xbaee, v37
	v_mul_f16_e32 v36, 0.5, v45
	v_mul_f16_e32 v37, -0.5, v37
	v_fmamk_f16 v57, v42, 0xbaee, v10
	v_fmac_f16_e32 v10, 0x3aee, v42
	v_fmamk_f16 v42, v32, 0x3aee, v61
	v_fmac_f16_e32 v23, 0.5, v63
	v_fmac_f16_e32 v55, 0x3aee, v63
	v_fmac_f16_e32 v61, 0xbaee, v32
	v_fmac_f16_e32 v40, -0.5, v54
	v_fmac_f16_e32 v58, 0x3aee, v54
	v_fmamk_f16 v32, v59, 0xbaee, v9
	v_fmac_f16_e32 v9, 0x3aee, v59
	v_pack_b32_f16 v45, v24, v52
	v_pack_b32_f16 v47, v47, v48
	v_add_f16_e32 v48, v60, v49
	v_add_f16_e32 v52, v26, v56
	;; [unrolled: 1-line block ×3, first 2 shown]
	v_sub_f16_e32 v49, v60, v49
	v_add_f16_e32 v60, v50, v51
	v_fmac_f16_e32 v34, 0.5, v39
	v_fmac_f16_e32 v35, -0.5, v41
	v_fmac_f16_e32 v36, 0x3aee, v39
	v_fmac_f16_e32 v37, 0x3aee, v41
	v_sub_f16_e32 v56, v26, v56
	v_sub_f16_e32 v46, v27, v46
	;; [unrolled: 1-line block ×3, first 2 shown]
	v_add_f16_e32 v39, v57, v23
	v_add_f16_e32 v51, v42, v55
	;; [unrolled: 1-line block ×4, first 2 shown]
	v_sub_f16_e32 v57, v57, v23
	v_sub_f16_e32 v10, v10, v40
	;; [unrolled: 1-line block ×4, first 2 shown]
	v_pack_b32_f16 v53, v53, v62
	v_sub_f16_e32 v23, v32, v34
	v_sub_f16_e32 v24, v9, v35
	;; [unrolled: 1-line block ×3, first 2 shown]
	v_pack_b32_f16 v48, v48, v59
	v_sub_f16_e32 v27, v14, v37
	v_pack_b32_f16 v52, v52, v60
	v_pack_b32_f16 v46, v49, v46
	;; [unrolled: 1-line block ×7, first 2 shown]
	ds_write2_b32 v44, v53, v48 offset1:3
	ds_write2_b32 v44, v52, v38 offset0:6 offset1:9
	ds_write2_b32 v44, v46, v49 offset0:12 offset1:15
	ds_write2_b32 v43, v45, v39 offset1:3
	ds_write2_b32 v43, v41, v47 offset0:6 offset1:9
	ds_write2_b32 v43, v40, v10 offset0:12 offset1:15
	s_and_saveexec_b32 s4, s1
	s_cbranch_execz .LBB0_25
; %bb.24:
	v_add_f16_e32 v10, v19, v31
	v_add_f16_e32 v19, v22, v28
	;; [unrolled: 1-line block ×4, first 2 shown]
	v_lshlrev_b32_sdwa v16, v18, v30 dst_sel:DWORD dst_unused:UNUSED_PAD src0_sel:DWORD src1_sel:BYTE_0
	v_add_f16_e32 v8, v10, v8
	v_add_f16_e32 v10, v19, v13
	;; [unrolled: 1-line block ×6, first 2 shown]
	v_sub_f16_e32 v15, v8, v10
	v_add_f16_e32 v8, v8, v10
	v_mul_u32_u24_sdwa v10, v29, v17 dst_sel:DWORD dst_unused:UNUSED_PAD src0_sel:WORD_0 src1_sel:DWORD
	v_add_f16_e32 v17, v7, v12
	v_add_f16_e32 v18, v32, v34
	;; [unrolled: 1-line block ×3, first 2 shown]
	v_sub_f16_e32 v7, v7, v12
	v_add3_u32 v10, 0, v10, v16
	v_pack_b32_f16 v8, v17, v8
	v_pack_b32_f16 v12, v18, v14
	;; [unrolled: 1-line block ×4, first 2 shown]
	v_perm_b32 v13, v26, v23, 0x5040100
	v_perm_b32 v14, v27, v24, 0x5040100
	ds_write2_b32 v10, v8, v12 offset1:3
	ds_write2_b32 v10, v9, v7 offset0:6 offset1:9
	ds_write2_b32 v10, v13, v14 offset0:12 offset1:15
.LBB0_25:
	s_or_b32 exec_lo, exec_lo, s4
	v_mul_lo_u16 v7, v11, 57
	v_mov_b32_e32 v8, 15
	s_waitcnt lgkmcnt(0)
	s_barrier
	buffer_gl0_inv
	v_lshrrev_b16 v22, 10, v7
	v_add_nc_u32_e32 v30, 0x200, v0
	v_add_nc_u32_e32 v28, 0x400, v0
	v_add_nc_u32_e32 v29, 0x800, v0
	v_add_nc_u32_e32 v45, 0xa00, v0
	v_mul_lo_u16 v7, v22, 18
	v_mov_b32_e32 v48, 0x120
	v_sub_nc_u16 v47, v3, v7
	v_mul_u32_u24_sdwa v22, v22, v48 dst_sel:DWORD dst_unused:UNUSED_PAD src0_sel:WORD_0 src1_sel:DWORD
	v_mul_u32_u24_sdwa v7, v47, v8 dst_sel:DWORD dst_unused:UNUSED_PAD src0_sel:BYTE_0 src1_sel:DWORD
	v_or_b32_sdwa v22, v22, v47 dst_sel:DWORD dst_unused:UNUSED_PAD src0_sel:DWORD src1_sel:BYTE_0
	v_lshlrev_b32_e32 v19, 2, v7
	v_lshl_add_u32 v22, v22, 2, 0
	s_clause 0x3
	global_load_dwordx4 v[7:10], v19, s[12:13] offset:60
	global_load_dwordx4 v[11:14], v19, s[12:13] offset:76
	;; [unrolled: 1-line block ×3, first 2 shown]
	global_load_dwordx3 v[19:21], v19, s[12:13] offset:108
	ds_read2_b32 v[31:32], v0 offset1:54
	ds_read2_b32 v[33:34], v0 offset0:108 offset1:162
	ds_read2_b32 v[35:36], v30 offset0:88 offset1:142
	;; [unrolled: 1-line block ×7, first 2 shown]
	v_add_nc_u32_e32 v63, 0x200, v22
	s_waitcnt vmcnt(0) lgkmcnt(0)
	s_barrier
	buffer_gl0_inv
	v_lshrrev_b32_e32 v47, 16, v36
	v_lshrrev_b32_e32 v50, 16, v34
	;; [unrolled: 1-line block ×16, first 2 shown]
	v_mul_f16_sdwa v65, v9, v50 dst_sel:DWORD dst_unused:UNUSED_PAD src0_sel:WORD_1 src1_sel:DWORD
	v_mul_f16_sdwa v64, v8, v49 dst_sel:DWORD dst_unused:UNUSED_PAD src0_sel:WORD_1 src1_sel:DWORD
	;; [unrolled: 1-line block ×5, first 2 shown]
	v_fmac_f16_e32 v65, v9, v34
	v_mul_f16_sdwa v34, v10, v35 dst_sel:DWORD dst_unused:UNUSED_PAD src0_sel:WORD_1 src1_sel:DWORD
	v_fmac_f16_e32 v64, v8, v33
	v_mul_f16_sdwa v33, v7, v48 dst_sel:DWORD dst_unused:UNUSED_PAD src0_sel:WORD_1 src1_sel:DWORD
	v_fma_f16 v48, v7, v48, -v66
	v_mul_f16_sdwa v66, v10, v57 dst_sel:DWORD dst_unused:UNUSED_PAD src0_sel:WORD_1 src1_sel:DWORD
	v_fma_f16 v8, v8, v49, -v67
	v_mul_f16_sdwa v49, v47, v11 dst_sel:DWORD dst_unused:UNUSED_PAD src0_sel:DWORD src1_sel:WORD_1
	v_fma_f16 v34, v10, v57, -v34
	v_mul_f16_sdwa v57, v53, v13 dst_sel:DWORD dst_unused:UNUSED_PAD src0_sel:DWORD src1_sel:WORD_1
	;; [unrolled: 2-line block ×3, first 2 shown]
	v_fmac_f16_e32 v33, v7, v32
	v_fmac_f16_e32 v66, v10, v35
	v_mul_f16_sdwa v7, v36, v11 dst_sel:DWORD dst_unused:UNUSED_PAD src0_sel:DWORD src1_sel:WORD_1
	v_mul_f16_sdwa v10, v37, v12 dst_sel:DWORD dst_unused:UNUSED_PAD src0_sel:DWORD src1_sel:WORD_1
	;; [unrolled: 1-line block ×4, first 2 shown]
	v_fmac_f16_e32 v49, v36, v11
	v_mul_f16_sdwa v36, v54, v14 dst_sel:DWORD dst_unused:UNUSED_PAD src0_sel:DWORD src1_sel:WORD_1
	v_mul_f16_sdwa v67, v55, v15 dst_sel:DWORD dst_unused:UNUSED_PAD src0_sel:DWORD src1_sel:WORD_1
	v_fmac_f16_e32 v57, v38, v13
	v_mul_f16_sdwa v38, v56, v16 dst_sel:DWORD dst_unused:UNUSED_PAD src0_sel:DWORD src1_sel:WORD_1
	v_fmac_f16_e32 v50, v37, v12
	v_mul_f16_sdwa v37, v40, v15 dst_sel:DWORD dst_unused:UNUSED_PAD src0_sel:DWORD src1_sel:WORD_1
	v_fma_f16 v7, v47, v11, -v7
	v_mul_f16_sdwa v11, v58, v17 dst_sel:DWORD dst_unused:UNUSED_PAD src0_sel:DWORD src1_sel:WORD_1
	v_fma_f16 v10, v52, v12, -v10
	;; [unrolled: 2-line block ×4, first 2 shown]
	v_mul_f16_sdwa v47, v59, v18 dst_sel:DWORD dst_unused:UNUSED_PAD src0_sel:DWORD src1_sel:WORD_1
	v_fmac_f16_e32 v36, v39, v14
	v_mul_f16_sdwa v14, v43, v18 dst_sel:DWORD dst_unused:UNUSED_PAD src0_sel:DWORD src1_sel:WORD_1
	v_mul_f16_sdwa v39, v60, v19 dst_sel:DWORD dst_unused:UNUSED_PAD src0_sel:DWORD src1_sel:WORD_1
	;; [unrolled: 1-line block ×4, first 2 shown]
	v_fmac_f16_e32 v67, v40, v15
	v_mul_f16_sdwa v40, v45, v20 dst_sel:DWORD dst_unused:UNUSED_PAD src0_sel:DWORD src1_sel:WORD_1
	v_mul_f16_sdwa v54, v62, v21 dst_sel:DWORD dst_unused:UNUSED_PAD src0_sel:DWORD src1_sel:WORD_1
	v_fmac_f16_e32 v38, v41, v16
	v_mul_f16_sdwa v41, v46, v21 dst_sel:DWORD dst_unused:UNUSED_PAD src0_sel:DWORD src1_sel:WORD_1
	v_fmac_f16_e32 v11, v42, v17
	v_fma_f16 v15, v55, v15, -v37
	v_fma_f16 v12, v56, v16, -v12
	;; [unrolled: 1-line block ×4, first 2 shown]
	v_fmac_f16_e32 v47, v43, v18
	v_fmac_f16_e32 v39, v44, v19
	v_fma_f16 v17, v60, v19, -v52
	v_fmac_f16_e32 v53, v45, v20
	v_fma_f16 v18, v61, v20, -v40
	;; [unrolled: 2-line block ×3, first 2 shown]
	v_sub_f16_e32 v20, v31, v36
	v_sub_f16_e32 v21, v51, v35
	;; [unrolled: 1-line block ×16, first 2 shown]
	v_fma_f16 v31, v31, 2.0, -v20
	v_fma_f16 v40, v51, 2.0, -v21
	;; [unrolled: 1-line block ×16, first 2 shown]
	v_add_f16_e32 v14, v20, v14
	v_sub_f16_e32 v32, v21, v32
	v_add_f16_e32 v18, v35, v18
	v_sub_f16_e32 v36, v12, v36
	;; [unrolled: 2-line block ×4, first 2 shown]
	v_sub_f16_e32 v41, v31, v41
	v_sub_f16_e32 v34, v40, v34
	v_fma_f16 v20, v20, 2.0, -v14
	v_fma_f16 v21, v21, 2.0, -v32
	v_sub_f16_e32 v43, v42, v43
	v_sub_f16_e32 v10, v8, v10
	v_fma_f16 v35, v35, 2.0, -v18
	v_fma_f16 v12, v12, 2.0, -v36
	;; [unrolled: 4-line block ×4, first 2 shown]
	v_fmamk_f16 v48, v18, 0x39a8, v14
	v_fmamk_f16 v49, v36, 0x39a8, v32
	;; [unrolled: 1-line block ×4, first 2 shown]
	v_fma_f16 v52, v31, 2.0, -v41
	v_fma_f16 v40, v40, 2.0, -v34
	;; [unrolled: 1-line block ×8, first 2 shown]
	v_fmamk_f16 v46, v35, 0xb9a8, v20
	v_fmamk_f16 v53, v12, 0xb9a8, v21
	v_fmac_f16_e32 v48, 0x39a8, v36
	v_fmac_f16_e32 v49, 0xb9a8, v18
	v_fmamk_f16 v18, v11, 0xb9a8, v37
	v_fmamk_f16 v36, v16, 0xb9a8, v15
	v_add_f16_e32 v10, v41, v10
	v_sub_f16_e32 v43, v34, v43
	v_add_f16_e32 v13, v45, v13
	v_sub_f16_e32 v47, v7, v47
	v_fmac_f16_e32 v50, 0x39a8, v39
	v_fmac_f16_e32 v51, 0xb9a8, v19
	v_sub_f16_e32 v19, v52, v31
	v_sub_f16_e32 v8, v40, v8
	v_fmac_f16_e32 v46, 0x39a8, v12
	v_fmac_f16_e32 v53, 0xb9a8, v35
	v_sub_f16_e32 v39, v33, v44
	v_sub_f16_e32 v9, v42, v9
	v_fmac_f16_e32 v18, 0x39a8, v16
	v_fmac_f16_e32 v36, 0xb9a8, v11
	v_fma_f16 v12, v41, 2.0, -v10
	v_fma_f16 v34, v34, 2.0, -v43
	;; [unrolled: 1-line block ×8, first 2 shown]
	v_fmamk_f16 v38, v13, 0x39a8, v10
	v_fmamk_f16 v41, v47, 0x39a8, v43
	;; [unrolled: 1-line block ×4, first 2 shown]
	v_fma_f16 v44, v52, 2.0, -v19
	v_fma_f16 v40, v40, 2.0, -v8
	;; [unrolled: 1-line block ×8, first 2 shown]
	v_fmamk_f16 v45, v11, 0xb9a8, v12
	v_fmamk_f16 v52, v7, 0xb9a8, v34
	;; [unrolled: 1-line block ×6, first 2 shown]
	v_add_f16_e32 v9, v19, v9
	v_sub_f16_e32 v39, v8, v39
	v_fmac_f16_e32 v38, 0x39a8, v47
	v_fmac_f16_e32 v41, 0xb9a8, v13
	;; [unrolled: 1-line block ×4, first 2 shown]
	v_sub_f16_e32 v13, v44, v33
	v_sub_f16_e32 v33, v40, v42
	v_fmamk_f16 v42, v37, 0xbb64, v20
	v_fmamk_f16 v47, v15, 0xbb64, v21
	v_fmac_f16_e32 v45, 0x39a8, v7
	v_fmac_f16_e32 v52, 0xb9a8, v11
	;; [unrolled: 1-line block ×6, first 2 shown]
	v_fma_f16 v7, v19, 2.0, -v9
	v_fma_f16 v8, v8, 2.0, -v39
	;; [unrolled: 1-line block ×6, first 2 shown]
	v_pack_b32_f16 v18, v38, v41
	v_pack_b32_f16 v19, v31, v32
	v_fmac_f16_e32 v42, 0x361f, v15
	v_fmac_f16_e32 v47, 0xb61f, v37
	v_fma_f16 v12, v12, 2.0, -v45
	v_fma_f16 v15, v34, 2.0, -v52
	v_fma_f16 v14, v14, 2.0, -v54
	v_fma_f16 v34, v35, 2.0, -v55
	v_fma_f16 v35, v46, 2.0, -v56
	v_fma_f16 v37, v53, 2.0, -v57
	v_pack_b32_f16 v7, v7, v8
	v_pack_b32_f16 v8, v10, v11
	;; [unrolled: 1-line block ×3, first 2 shown]
	v_fma_f16 v36, v44, 2.0, -v13
	v_fma_f16 v38, v40, 2.0, -v33
	ds_write2_b32 v63, v18, v19 offset0:124 offset1:142
	v_fma_f16 v18, v20, 2.0, -v42
	v_fma_f16 v19, v21, 2.0, -v47
	v_pack_b32_f16 v9, v9, v39
	v_pack_b32_f16 v11, v13, v33
	;; [unrolled: 1-line block ×8, first 2 shown]
	ds_write2_b32 v22, v8, v10 offset0:108 offset1:126
	v_pack_b32_f16 v8, v42, v47
	v_pack_b32_f16 v20, v36, v38
	;; [unrolled: 1-line block ×3, first 2 shown]
	ds_write2_b32 v22, v13, v16 offset0:180 offset1:198
	ds_write2_b32 v22, v9, v17 offset0:216 offset1:234
	;; [unrolled: 1-line block ×5, first 2 shown]
	ds_write2_b32 v22, v20, v10 offset1:18
	s_waitcnt lgkmcnt(0)
	s_barrier
	buffer_gl0_inv
	ds_read2_b32 v[9:10], v0 offset1:54
	ds_read2_b32 v[7:8], v30 offset0:88 offset1:160
	ds_read2_b32 v[21:22], v29 offset0:64 offset1:118
	;; [unrolled: 1-line block ×6, first 2 shown]
	ds_read_b32 v33, v0 offset:3168
	s_and_saveexec_b32 s1, s0
	s_cbranch_execz .LBB0_27
; %bb.26:
	ds_read_b32 v31, v0 offset:1080
	ds_read_b32 v23, v0 offset:2232
	;; [unrolled: 1-line block ×3, first 2 shown]
	s_waitcnt lgkmcnt(2)
	v_lshrrev_b32_e32 v32, 16, v31
	s_waitcnt lgkmcnt(1)
	v_lshrrev_b32_e32 v26, 16, v23
	;; [unrolled: 2-line block ×3, first 2 shown]
.LBB0_27:
	s_or_b32 exec_lo, exec_lo, s1
	v_mov_b32_e32 v14, 0
	v_lshlrev_b32_e32 v13, 1, v3
	v_lshlrev_b32_e32 v34, 1, v4
	;; [unrolled: 1-line block ×3, first 2 shown]
	s_waitcnt lgkmcnt(6)
	v_lshrrev_b32_e32 v53, 16, v8
	v_mov_b32_e32 v35, v14
	v_lshlrev_b64 v[36:37], 2, v[13:14]
	v_mov_b32_e32 v39, v14
	v_add_nc_u32_e32 v40, 0x144, v13
	v_mov_b32_e32 v41, v14
	v_lshlrev_b64 v[34:35], 2, v[34:35]
	v_add_nc_u32_e32 v13, 0x1b0, v13
	v_add_co_u32 v36, s1, s12, v36
	v_lshlrev_b64 v[38:39], 2, v[38:39]
	v_add_co_ci_u32_e64 v37, s1, s13, v37, s1
	v_add_co_u32 v34, s1, s12, v34
	v_lshlrev_b64 v[40:41], 2, v[40:41]
	v_add_co_ci_u32_e64 v35, s1, s13, v35, s1
	;; [unrolled: 3-line block ×3, first 2 shown]
	v_add_co_u32 v40, s1, s12, v40
	global_load_dwordx2 v[36:37], v[36:37], off offset:1140
	v_add_co_ci_u32_e64 v41, s1, s13, v41, s1
	v_add_co_u32 v42, s1, s12, v42
	v_add_co_ci_u32_e64 v43, s1, s13, v43, s1
	s_clause 0x3
	global_load_dwordx2 v[34:35], v[34:35], off offset:1140
	global_load_dwordx2 v[38:39], v[38:39], off offset:1140
	;; [unrolled: 1-line block ×4, first 2 shown]
	s_waitcnt lgkmcnt(5)
	v_lshrrev_b32_e32 v55, 16, v21
	s_waitcnt lgkmcnt(2)
	v_lshrrev_b32_e32 v50, 16, v15
	v_lshrrev_b32_e32 v51, 16, v20
	;; [unrolled: 1-line block ×5, first 2 shown]
	s_waitcnt lgkmcnt(1)
	v_lshrrev_b32_e32 v49, 16, v17
	v_lshrrev_b32_e32 v47, 16, v18
	s_waitcnt lgkmcnt(0)
	v_lshrrev_b32_e32 v48, 16, v33
	v_lshrrev_b32_e32 v4, 16, v9
	;; [unrolled: 1-line block ×6, first 2 shown]
	s_waitcnt vmcnt(0)
	s_barrier
	buffer_gl0_inv
	v_mul_f16_sdwa v56, v36, v53 dst_sel:DWORD dst_unused:UNUSED_PAD src0_sel:WORD_1 src1_sel:DWORD
	v_mul_f16_sdwa v57, v36, v8 dst_sel:DWORD dst_unused:UNUSED_PAD src0_sel:WORD_1 src1_sel:DWORD
	;; [unrolled: 1-line block ×4, first 2 shown]
	v_fmac_f16_e32 v56, v36, v8
	v_fma_f16 v8, v36, v53, -v57
	v_fmac_f16_e32 v58, v37, v21
	v_fma_f16 v21, v37, v55, -v59
	v_mul_f16_sdwa v36, v35, v52 dst_sel:DWORD dst_unused:UNUSED_PAD src0_sel:WORD_1 src1_sel:DWORD
	v_mul_f16_sdwa v37, v34, v54 dst_sel:DWORD dst_unused:UNUSED_PAD src0_sel:WORD_1 src1_sel:DWORD
	;; [unrolled: 1-line block ×10, first 2 shown]
	v_mul_f16_sdwa v64, v45, v41 dst_sel:DWORD dst_unused:UNUSED_PAD src0_sel:DWORD src1_sel:WORD_1
	v_mul_f16_sdwa v65, v16, v41 dst_sel:DWORD dst_unused:UNUSED_PAD src0_sel:DWORD src1_sel:WORD_1
	;; [unrolled: 1-line block ×6, first 2 shown]
	v_fmac_f16_e32 v36, v35, v22
	v_fma_f16 v22, v34, v54, -v53
	v_fma_f16 v35, v35, v52, -v55
	v_fmac_f16_e32 v37, v34, v19
	v_fmac_f16_e32 v57, v38, v20
	v_fma_f16 v20, v39, v50, -v61
	v_fmac_f16_e32 v60, v39, v15
	v_add_f16_e32 v34, v56, v58
	v_add_f16_e32 v39, v4, v8
	v_fma_f16 v19, v38, v51, -v59
	v_sub_f16_e32 v38, v8, v21
	v_add_f16_e32 v8, v8, v21
	v_fmac_f16_e32 v62, v40, v17
	v_fma_f16 v15, v40, v49, -v63
	v_fmac_f16_e32 v64, v16, v41
	v_fma_f16 v16, v45, v41, -v65
	;; [unrolled: 2-line block ×4, first 2 shown]
	v_add_f16_e32 v33, v9, v56
	v_fma_f16 v9, -0.5, v34, v9
	v_add_f16_e32 v21, v39, v21
	v_add_f16_e32 v34, v37, v36
	v_sub_f16_e32 v39, v22, v35
	v_add_f16_e32 v41, v13, v22
	v_add_f16_e32 v22, v22, v35
	v_fmac_f16_e32 v4, -0.5, v8
	v_add_f16_e32 v8, v10, v37
	v_add_f16_e32 v43, v57, v60
	v_sub_f16_e32 v45, v19, v20
	v_add_f16_e32 v47, v25, v19
	v_add_f16_e32 v19, v19, v20
	;; [unrolled: 1-line block ×3, first 2 shown]
	v_sub_f16_e32 v51, v15, v16
	v_add_f16_e32 v52, v44, v15
	v_add_f16_e32 v15, v15, v16
	v_sub_f16_e32 v40, v56, v58
	v_add_f16_e32 v42, v11, v57
	v_sub_f16_e32 v48, v57, v60
	v_add_f16_e32 v49, v12, v62
	v_add_f16_e32 v54, v7, v66
	;; [unrolled: 1-line block ×3, first 2 shown]
	v_sub_f16_e32 v56, v17, v18
	v_add_f16_e32 v57, v46, v17
	v_add_f16_e32 v17, v17, v18
	;; [unrolled: 1-line block ×3, first 2 shown]
	v_sub_f16_e32 v37, v37, v36
	v_fmac_f16_e32 v10, -0.5, v34
	v_fmac_f16_e32 v13, -0.5, v22
	v_add_f16_e32 v8, v8, v36
	v_add_f16_e32 v34, v41, v35
	v_fma_f16 v11, -0.5, v43, v11
	v_fmac_f16_e32 v25, -0.5, v19
	v_sub_f16_e32 v53, v62, v64
	v_fmac_f16_e32 v12, -0.5, v50
	v_fmac_f16_e32 v44, -0.5, v15
	v_sub_f16_e32 v58, v66, v68
	v_fmamk_f16 v59, v38, 0xbaee, v9
	v_fmac_f16_e32 v9, 0x3aee, v38
	v_fmamk_f16 v38, v40, 0x3aee, v4
	v_fmac_f16_e32 v4, 0xbaee, v40
	v_add_f16_e32 v22, v42, v60
	v_add_f16_e32 v20, v47, v20
	v_add_f16_e32 v19, v49, v64
	v_add_f16_e32 v16, v52, v16
	v_add_f16_e32 v15, v54, v68
	v_fmac_f16_e32 v7, -0.5, v55
	v_add_f16_e32 v18, v57, v18
	v_fmac_f16_e32 v46, -0.5, v17
	v_pack_b32_f16 v17, v33, v21
	v_fmamk_f16 v21, v39, 0xbaee, v10
	v_fmac_f16_e32 v10, 0x3aee, v39
	v_fmamk_f16 v33, v37, 0x3aee, v13
	v_fmac_f16_e32 v13, 0xbaee, v37
	v_fmamk_f16 v35, v45, 0xbaee, v11
	v_fmamk_f16 v36, v48, 0x3aee, v25
	v_pack_b32_f16 v8, v8, v34
	v_fmac_f16_e32 v11, 0x3aee, v45
	v_fmac_f16_e32 v25, 0xbaee, v48
	v_fmamk_f16 v37, v51, 0xbaee, v12
	v_fmac_f16_e32 v12, 0x3aee, v51
	v_fmamk_f16 v39, v53, 0x3aee, v44
	;; [unrolled: 2-line block ×3, first 2 shown]
	v_fmamk_f16 v41, v58, 0x3aee, v46
	v_pack_b32_f16 v38, v59, v38
	v_pack_b32_f16 v4, v9, v4
	;; [unrolled: 1-line block ×5, first 2 shown]
	v_fmac_f16_e32 v7, 0x3aee, v56
	v_fmac_f16_e32 v46, 0xbaee, v58
	v_pack_b32_f16 v10, v10, v13
	ds_write2_b32 v0, v17, v8 offset1:54
	v_pack_b32_f16 v8, v21, v33
	v_pack_b32_f16 v13, v35, v36
	;; [unrolled: 1-line block ×4, first 2 shown]
	ds_write2_b32 v0, v9, v16 offset0:108 offset1:162
	v_pack_b32_f16 v9, v37, v39
	ds_write2_b32 v30, v15, v38 offset0:88 offset1:160
	v_pack_b32_f16 v15, v40, v41
	v_pack_b32_f16 v7, v7, v46
	ds_write2_b32 v29, v4, v10 offset0:64 offset1:118
	ds_write2_b32 v28, v8, v13 offset0:86 offset1:140
	;; [unrolled: 1-line block ×4, first 2 shown]
	ds_write_b32 v0, v7 offset:3168
	s_and_saveexec_b32 s1, s0
	s_cbranch_execz .LBB0_29
; %bb.28:
	v_mov_b32_e32 v4, 0x10e
	v_cndmask_b32_e64 v4, 0xffffffee, v4, s0
	v_add_lshl_u32 v13, v3, v4, 1
	v_lshlrev_b64 v[7:8], 2, v[13:14]
	v_add_co_u32 v7, s0, s12, v7
	v_add_co_ci_u32_e64 v8, s0, s13, v8, s0
	global_load_dwordx2 v[7:8], v[7:8], off offset:1140
	s_waitcnt vmcnt(0)
	v_mul_f16_sdwa v4, v24, v8 dst_sel:DWORD dst_unused:UNUSED_PAD src0_sel:DWORD src1_sel:WORD_1
	v_mul_f16_sdwa v9, v23, v7 dst_sel:DWORD dst_unused:UNUSED_PAD src0_sel:DWORD src1_sel:WORD_1
	;; [unrolled: 1-line block ×4, first 2 shown]
	v_fma_f16 v4, v27, v8, -v4
	v_fma_f16 v9, v26, v7, -v9
	v_fmac_f16_e32 v10, v23, v7
	v_fmac_f16_e32 v11, v24, v8
	v_add_f16_e32 v7, v9, v4
	v_add_f16_e32 v8, v32, v9
	;; [unrolled: 1-line block ×4, first 2 shown]
	v_sub_f16_e32 v10, v10, v11
	v_fmac_f16_e32 v32, -0.5, v7
	v_sub_f16_e32 v7, v9, v4
	v_fmac_f16_e32 v31, -0.5, v12
	v_add_f16_e32 v4, v8, v4
	v_add_f16_e32 v8, v13, v11
	v_fmamk_f16 v9, v10, 0xbaee, v32
	v_fmac_f16_e32 v32, 0x3aee, v10
	v_fmamk_f16 v10, v7, 0x3aee, v31
	v_fmac_f16_e32 v31, 0xbaee, v7
	v_pack_b32_f16 v4, v8, v4
	v_pack_b32_f16 v8, v10, v9
	v_pack_b32_f16 v7, v31, v32
	ds_write_b32 v0, v4 offset:1080
	ds_write_b32 v0, v7 offset:2232
	;; [unrolled: 1-line block ×3, first 2 shown]
.LBB0_29:
	s_or_b32 exec_lo, exec_lo, s1
	s_waitcnt lgkmcnt(0)
	s_barrier
	buffer_gl0_inv
	s_and_saveexec_b32 s0, vcc_lo
	s_cbranch_execz .LBB0_31
; %bb.30:
	v_mul_lo_u32 v0, s3, v5
	v_mul_lo_u32 v7, s2, v6
	v_mad_u64_u32 v[5:6], null, s2, v5, 0
	v_lshl_add_u32 v19, v3, 2, 0
	v_mov_b32_e32 v4, 0
	v_add_nc_u32_e32 v9, 0x6c, v3
	ds_read2_b32 v[11:12], v19 offset1:54
	v_add3_u32 v6, v6, v7, v0
	v_lshlrev_b64 v[0:1], 2, v[1:2]
	v_add_nc_u32_e32 v7, 54, v3
	v_mov_b32_e32 v8, v4
	ds_read2_b32 v[15:16], v19 offset0:108 offset1:162
	v_lshlrev_b64 v[5:6], 2, v[5:6]
	v_lshlrev_b64 v[13:14], 2, v[3:4]
	v_mov_b32_e32 v10, v4
	v_mov_b32_e32 v18, v4
	v_add_co_u32 v2, vcc_lo, s10, v5
	v_add_co_ci_u32_e32 v17, vcc_lo, s11, v6, vcc_lo
	v_lshlrev_b64 v[5:6], 2, v[7:8]
	v_add_co_u32 v20, vcc_lo, v2, v0
	v_add_co_ci_u32_e32 v21, vcc_lo, v17, v1, vcc_lo
	v_lshlrev_b64 v[0:1], 2, v[9:10]
	v_add_co_u32 v7, vcc_lo, v20, v13
	v_add_co_ci_u32_e32 v8, vcc_lo, v21, v14, vcc_lo
	v_add_co_u32 v5, vcc_lo, v20, v5
	v_add_co_ci_u32_e32 v6, vcc_lo, v21, v6, vcc_lo
	;; [unrolled: 2-line block ×3, first 2 shown]
	v_add_nc_u32_e32 v9, 0xa2, v3
	v_add_nc_u32_e32 v2, 0x200, v19
	s_waitcnt lgkmcnt(1)
	global_store_dword v[7:8], v11, off
	global_store_dword v[5:6], v12, off
	s_waitcnt lgkmcnt(0)
	global_store_dword v[0:1], v15, off
	v_add_nc_u32_e32 v15, 0x400, v19
	v_add_nc_u32_e32 v5, 0xd8, v3
	v_mov_b32_e32 v6, v4
	v_lshlrev_b64 v[0:1], 2, v[9:10]
	ds_read2_b32 v[9:10], v2 offset0:88 offset1:142
	v_add_nc_u32_e32 v7, 0x10e, v3
	v_mov_b32_e32 v8, v4
	ds_read2_b32 v[13:14], v15 offset0:68 offset1:122
	v_lshlrev_b64 v[5:6], 2, v[5:6]
	v_add_nc_u32_e32 v11, 0x144, v3
	v_mov_b32_e32 v12, v4
	v_add_co_u32 v0, vcc_lo, v20, v0
	v_lshlrev_b64 v[7:8], 2, v[7:8]
	v_add_co_ci_u32_e32 v1, vcc_lo, v21, v1, vcc_lo
	v_add_co_u32 v5, vcc_lo, v20, v5
	v_lshlrev_b64 v[11:12], 2, v[11:12]
	v_add_co_ci_u32_e32 v6, vcc_lo, v21, v6, vcc_lo
	v_add_co_u32 v7, vcc_lo, v20, v7
	v_add_co_ci_u32_e32 v8, vcc_lo, v21, v8, vcc_lo
	v_add_co_u32 v11, vcc_lo, v20, v11
	v_add_nc_u32_e32 v17, 0x17a, v3
	v_add_co_ci_u32_e32 v12, vcc_lo, v21, v12, vcc_lo
	v_add_nc_u32_e32 v2, 0x800, v19
	global_store_dword v[0:1], v16, off
	s_waitcnt lgkmcnt(1)
	global_store_dword v[5:6], v9, off
	global_store_dword v[7:8], v10, off
	s_waitcnt lgkmcnt(0)
	global_store_dword v[11:12], v13, off
	v_add_nc_u32_e32 v5, 0x1b0, v3
	v_mov_b32_e32 v6, v4
	v_lshlrev_b64 v[0:1], 2, v[17:18]
	ds_read2_b32 v[9:10], v15 offset0:176 offset1:230
	v_add_nc_u32_e32 v7, 0x1e6, v3
	v_mov_b32_e32 v8, v4
	ds_read2_b32 v[15:16], v2 offset0:28 offset1:82
	v_lshlrev_b64 v[5:6], 2, v[5:6]
	v_add_nc_u32_e32 v11, 0x21c, v3
	v_mov_b32_e32 v12, v4
	v_add_co_u32 v0, vcc_lo, v20, v0
	v_lshlrev_b64 v[7:8], 2, v[7:8]
	v_add_co_ci_u32_e32 v1, vcc_lo, v21, v1, vcc_lo
	v_add_co_u32 v5, vcc_lo, v20, v5
	v_lshlrev_b64 v[11:12], 2, v[11:12]
	v_add_co_ci_u32_e32 v6, vcc_lo, v21, v6, vcc_lo
	v_add_co_u32 v7, vcc_lo, v20, v7
	v_add_co_ci_u32_e32 v8, vcc_lo, v21, v8, vcc_lo
	v_add_co_u32 v11, vcc_lo, v20, v11
	v_add_nc_u32_e32 v17, 0x252, v3
	v_add_co_ci_u32_e32 v12, vcc_lo, v21, v12, vcc_lo
	global_store_dword v[0:1], v14, off
	s_waitcnt lgkmcnt(1)
	global_store_dword v[5:6], v9, off
	global_store_dword v[7:8], v10, off
	s_waitcnt lgkmcnt(0)
	global_store_dword v[11:12], v15, off
	v_add_nc_u32_e32 v5, 0x288, v3
	v_mov_b32_e32 v6, v4
	ds_read2_b32 v[9:10], v2 offset0:136 offset1:190
	v_add_nc_u32_e32 v2, 0xa00, v19
	v_lshlrev_b64 v[0:1], 2, v[17:18]
	v_add_nc_u32_e32 v7, 0x2be, v3
	v_mov_b32_e32 v8, v4
	v_lshlrev_b64 v[5:6], 2, v[5:6]
	v_add_nc_u32_e32 v11, 0x2f4, v3
	v_mov_b32_e32 v12, v4
	ds_read2_b32 v[13:14], v2 offset0:116 offset1:170
	v_add_co_u32 v0, vcc_lo, v20, v0
	v_lshlrev_b64 v[7:8], 2, v[7:8]
	v_add_nc_u32_e32 v3, 0x32a, v3
	v_add_co_ci_u32_e32 v1, vcc_lo, v21, v1, vcc_lo
	v_add_co_u32 v5, vcc_lo, v20, v5
	v_lshlrev_b64 v[11:12], 2, v[11:12]
	v_add_co_ci_u32_e32 v6, vcc_lo, v21, v6, vcc_lo
	v_add_co_u32 v7, vcc_lo, v20, v7
	v_lshlrev_b64 v[2:3], 2, v[3:4]
	v_add_co_ci_u32_e32 v8, vcc_lo, v21, v8, vcc_lo
	v_add_co_u32 v11, vcc_lo, v20, v11
	v_add_co_ci_u32_e32 v12, vcc_lo, v21, v12, vcc_lo
	v_add_co_u32 v2, vcc_lo, v20, v2
	v_add_co_ci_u32_e32 v3, vcc_lo, v21, v3, vcc_lo
	global_store_dword v[0:1], v16, off
	s_waitcnt lgkmcnt(1)
	global_store_dword v[5:6], v9, off
	global_store_dword v[7:8], v10, off
	s_waitcnt lgkmcnt(0)
	global_store_dword v[11:12], v13, off
	global_store_dword v[2:3], v14, off
.LBB0_31:
	s_endpgm
	.section	.rodata,"a",@progbits
	.p2align	6, 0x0
	.amdhsa_kernel fft_rtc_back_len864_factors_3_6_16_3_wgs_54_tpt_54_halfLds_half_op_CI_CI_unitstride_sbrr_C2R_dirReg
		.amdhsa_group_segment_fixed_size 0
		.amdhsa_private_segment_fixed_size 0
		.amdhsa_kernarg_size 104
		.amdhsa_user_sgpr_count 6
		.amdhsa_user_sgpr_private_segment_buffer 1
		.amdhsa_user_sgpr_dispatch_ptr 0
		.amdhsa_user_sgpr_queue_ptr 0
		.amdhsa_user_sgpr_kernarg_segment_ptr 1
		.amdhsa_user_sgpr_dispatch_id 0
		.amdhsa_user_sgpr_flat_scratch_init 0
		.amdhsa_user_sgpr_private_segment_size 0
		.amdhsa_wavefront_size32 1
		.amdhsa_uses_dynamic_stack 0
		.amdhsa_system_sgpr_private_segment_wavefront_offset 0
		.amdhsa_system_sgpr_workgroup_id_x 1
		.amdhsa_system_sgpr_workgroup_id_y 0
		.amdhsa_system_sgpr_workgroup_id_z 0
		.amdhsa_system_sgpr_workgroup_info 0
		.amdhsa_system_vgpr_workitem_id 0
		.amdhsa_next_free_vgpr 70
		.amdhsa_next_free_sgpr 27
		.amdhsa_reserve_vcc 1
		.amdhsa_reserve_flat_scratch 0
		.amdhsa_float_round_mode_32 0
		.amdhsa_float_round_mode_16_64 0
		.amdhsa_float_denorm_mode_32 3
		.amdhsa_float_denorm_mode_16_64 3
		.amdhsa_dx10_clamp 1
		.amdhsa_ieee_mode 1
		.amdhsa_fp16_overflow 0
		.amdhsa_workgroup_processor_mode 1
		.amdhsa_memory_ordered 1
		.amdhsa_forward_progress 0
		.amdhsa_shared_vgpr_count 0
		.amdhsa_exception_fp_ieee_invalid_op 0
		.amdhsa_exception_fp_denorm_src 0
		.amdhsa_exception_fp_ieee_div_zero 0
		.amdhsa_exception_fp_ieee_overflow 0
		.amdhsa_exception_fp_ieee_underflow 0
		.amdhsa_exception_fp_ieee_inexact 0
		.amdhsa_exception_int_div_zero 0
	.end_amdhsa_kernel
	.text
.Lfunc_end0:
	.size	fft_rtc_back_len864_factors_3_6_16_3_wgs_54_tpt_54_halfLds_half_op_CI_CI_unitstride_sbrr_C2R_dirReg, .Lfunc_end0-fft_rtc_back_len864_factors_3_6_16_3_wgs_54_tpt_54_halfLds_half_op_CI_CI_unitstride_sbrr_C2R_dirReg
                                        ; -- End function
	.section	.AMDGPU.csdata,"",@progbits
; Kernel info:
; codeLenInByte = 10180
; NumSgprs: 29
; NumVgprs: 70
; ScratchSize: 0
; MemoryBound: 0
; FloatMode: 240
; IeeeMode: 1
; LDSByteSize: 0 bytes/workgroup (compile time only)
; SGPRBlocks: 3
; VGPRBlocks: 8
; NumSGPRsForWavesPerEU: 29
; NumVGPRsForWavesPerEU: 70
; Occupancy: 12
; WaveLimiterHint : 1
; COMPUTE_PGM_RSRC2:SCRATCH_EN: 0
; COMPUTE_PGM_RSRC2:USER_SGPR: 6
; COMPUTE_PGM_RSRC2:TRAP_HANDLER: 0
; COMPUTE_PGM_RSRC2:TGID_X_EN: 1
; COMPUTE_PGM_RSRC2:TGID_Y_EN: 0
; COMPUTE_PGM_RSRC2:TGID_Z_EN: 0
; COMPUTE_PGM_RSRC2:TIDIG_COMP_CNT: 0
	.text
	.p2alignl 6, 3214868480
	.fill 48, 4, 3214868480
	.type	__hip_cuid_8f122d0c504dc7b5,@object ; @__hip_cuid_8f122d0c504dc7b5
	.section	.bss,"aw",@nobits
	.globl	__hip_cuid_8f122d0c504dc7b5
__hip_cuid_8f122d0c504dc7b5:
	.byte	0                               ; 0x0
	.size	__hip_cuid_8f122d0c504dc7b5, 1

	.ident	"AMD clang version 19.0.0git (https://github.com/RadeonOpenCompute/llvm-project roc-6.4.0 25133 c7fe45cf4b819c5991fe208aaa96edf142730f1d)"
	.section	".note.GNU-stack","",@progbits
	.addrsig
	.addrsig_sym __hip_cuid_8f122d0c504dc7b5
	.amdgpu_metadata
---
amdhsa.kernels:
  - .args:
      - .actual_access:  read_only
        .address_space:  global
        .offset:         0
        .size:           8
        .value_kind:     global_buffer
      - .offset:         8
        .size:           8
        .value_kind:     by_value
      - .actual_access:  read_only
        .address_space:  global
        .offset:         16
        .size:           8
        .value_kind:     global_buffer
      - .actual_access:  read_only
        .address_space:  global
        .offset:         24
        .size:           8
        .value_kind:     global_buffer
      - .actual_access:  read_only
        .address_space:  global
        .offset:         32
        .size:           8
        .value_kind:     global_buffer
      - .offset:         40
        .size:           8
        .value_kind:     by_value
      - .actual_access:  read_only
        .address_space:  global
        .offset:         48
        .size:           8
        .value_kind:     global_buffer
      - .actual_access:  read_only
        .address_space:  global
        .offset:         56
        .size:           8
        .value_kind:     global_buffer
      - .offset:         64
        .size:           4
        .value_kind:     by_value
      - .actual_access:  read_only
        .address_space:  global
        .offset:         72
        .size:           8
        .value_kind:     global_buffer
      - .actual_access:  read_only
        .address_space:  global
        .offset:         80
        .size:           8
        .value_kind:     global_buffer
      - .actual_access:  read_only
        .address_space:  global
        .offset:         88
        .size:           8
        .value_kind:     global_buffer
      - .actual_access:  write_only
        .address_space:  global
        .offset:         96
        .size:           8
        .value_kind:     global_buffer
    .group_segment_fixed_size: 0
    .kernarg_segment_align: 8
    .kernarg_segment_size: 104
    .language:       OpenCL C
    .language_version:
      - 2
      - 0
    .max_flat_workgroup_size: 54
    .name:           fft_rtc_back_len864_factors_3_6_16_3_wgs_54_tpt_54_halfLds_half_op_CI_CI_unitstride_sbrr_C2R_dirReg
    .private_segment_fixed_size: 0
    .sgpr_count:     29
    .sgpr_spill_count: 0
    .symbol:         fft_rtc_back_len864_factors_3_6_16_3_wgs_54_tpt_54_halfLds_half_op_CI_CI_unitstride_sbrr_C2R_dirReg.kd
    .uniform_work_group_size: 1
    .uses_dynamic_stack: false
    .vgpr_count:     70
    .vgpr_spill_count: 0
    .wavefront_size: 32
    .workgroup_processor_mode: 1
amdhsa.target:   amdgcn-amd-amdhsa--gfx1030
amdhsa.version:
  - 1
  - 2
...

	.end_amdgpu_metadata
